;; amdgpu-corpus repo=ROCm/rocFFT kind=compiled arch=gfx1030 opt=O3
	.text
	.amdgcn_target "amdgcn-amd-amdhsa--gfx1030"
	.amdhsa_code_object_version 6
	.protected	bluestein_single_fwd_len1250_dim1_dp_op_CI_CI ; -- Begin function bluestein_single_fwd_len1250_dim1_dp_op_CI_CI
	.globl	bluestein_single_fwd_len1250_dim1_dp_op_CI_CI
	.p2align	8
	.type	bluestein_single_fwd_len1250_dim1_dp_op_CI_CI,@function
bluestein_single_fwd_len1250_dim1_dp_op_CI_CI: ; @bluestein_single_fwd_len1250_dim1_dp_op_CI_CI
; %bb.0:
	s_load_dwordx4 s[12:15], s[4:5], 0x28
	v_mul_u32_u24_e32 v1, 0x107, v0
	v_mov_b32_e32 v129, 0
	s_mov_b32 s0, exec_lo
	v_lshrrev_b32_e32 v1, 16, v1
	v_add_nc_u32_e32 v128, s6, v1
	s_waitcnt lgkmcnt(0)
	v_cmpx_gt_u64_e64 s[12:13], v[128:129]
	s_cbranch_execz .LBB0_10
; %bb.1:
	s_clause 0x1
	s_load_dwordx4 s[8:11], s[4:5], 0x18
	s_load_dwordx4 s[0:3], s[4:5], 0x0
	v_mul_lo_u16 v1, 0xfa, v1
	s_mov_b32 s13, 0xbfee6f0e
                                        ; implicit-def: $vgpr80_vgpr81
                                        ; implicit-def: $vgpr84_vgpr85
                                        ; implicit-def: $vgpr88_vgpr89
                                        ; implicit-def: $vgpr92_vgpr93
	v_sub_nc_u16 v78, v0, v1
	v_and_b32_e32 v129, 0xffff, v78
	v_lshlrev_b32_e32 v130, 4, v129
	s_waitcnt lgkmcnt(0)
	s_load_dwordx4 s[16:19], s[8:9], 0x0
	v_add_co_u32 v117, s6, s0, v130
	v_add_co_ci_u32_e64 v116, null, s1, 0, s6
	global_load_dwordx4 v[0:3], v130, s[0:1]
	s_waitcnt lgkmcnt(0)
	v_mad_u64_u32 v[4:5], null, s18, v128, 0
	v_mad_u64_u32 v[6:7], null, s16, v129, 0
	s_mul_i32 s0, s17, 0xfa0
	s_mul_hi_u32 s1, s16, 0xfa0
	s_mul_i32 s6, s16, 0xfa0
	s_add_i32 s1, s1, s0
	v_mad_u64_u32 v[8:9], null, s19, v128, v[5:6]
	v_add_co_u32 v9, vcc_lo, 0x800, v117
	v_add_co_ci_u32_e32 v10, vcc_lo, 0, v116, vcc_lo
	s_mov_b32 s18, 0x372fe950
	s_mov_b32 s19, 0x3fd3c6ef
	v_mad_u64_u32 v[11:12], null, s17, v129, v[7:8]
	v_mov_b32_e32 v5, v8
	v_add_co_u32 v12, vcc_lo, 0x1800, v117
	v_add_co_ci_u32_e32 v13, vcc_lo, 0, v116, vcc_lo
	v_add_co_u32 v14, vcc_lo, 0x2800, v117
	v_mov_b32_e32 v7, v11
	v_lshlrev_b64 v[4:5], 4, v[4:5]
	v_add_co_ci_u32_e32 v15, vcc_lo, 0, v116, vcc_lo
	v_add_co_u32 v16, vcc_lo, 0x3800, v117
	v_add_co_ci_u32_e32 v17, vcc_lo, 0, v116, vcc_lo
	v_lshlrev_b64 v[6:7], 4, v[6:7]
	v_add_co_u32 v4, vcc_lo, s14, v4
	v_add_co_ci_u32_e32 v5, vcc_lo, s15, v5, vcc_lo
	s_mov_b32 s14, 0x4755a5e
	v_add_co_u32 v18, vcc_lo, v4, v6
	v_add_co_ci_u32_e32 v19, vcc_lo, v5, v7, vcc_lo
	global_load_dwordx4 v[4:7], v[9:10], off offset:1952
	v_add_co_u32 v24, vcc_lo, v18, s6
	v_add_co_ci_u32_e32 v25, vcc_lo, s1, v19, vcc_lo
	global_load_dwordx4 v[8:11], v[12:13], off offset:1856
	v_add_co_u32 v28, vcc_lo, v24, s6
	v_add_co_ci_u32_e32 v29, vcc_lo, s1, v25, vcc_lo
	s_clause 0x1
	global_load_dwordx4 v[20:23], v[18:19], off
	global_load_dwordx4 v[24:27], v[24:25], off
	v_add_co_u32 v32, vcc_lo, v28, s6
	v_add_co_ci_u32_e32 v33, vcc_lo, s1, v29, vcc_lo
	s_mov_b32 s15, 0x3fe2cf23
	v_add_co_u32 v36, vcc_lo, v32, s6
	v_add_co_ci_u32_e32 v37, vcc_lo, s1, v33, vcc_lo
	global_load_dwordx4 v[28:31], v[28:29], off
	global_load_dwordx4 v[12:15], v[14:15], off offset:1760
	global_load_dwordx4 v[32:35], v[32:33], off
	global_load_dwordx4 v[16:19], v[16:17], off offset:1664
	global_load_dwordx4 v[36:39], v[36:37], off
	s_load_dwordx4 s[8:11], s[10:11], 0x0
	s_mov_b32 s0, 0x134454ff
	s_mov_b32 s1, 0x3fee6f0e
	;; [unrolled: 1-line block ×5, first 2 shown]
	s_load_dwordx2 s[6:7], s[4:5], 0x38
	v_cmp_gt_u16_e32 vcc_lo, 0x7d, v78
	s_waitcnt vmcnt(6)
	v_mul_f64 v[40:41], v[22:23], v[2:3]
	v_mul_f64 v[42:43], v[20:21], v[2:3]
	s_waitcnt vmcnt(5)
	v_mul_f64 v[44:45], v[26:27], v[6:7]
	v_mul_f64 v[46:47], v[24:25], v[6:7]
	;; [unrolled: 3-line block ×5, first 2 shown]
	v_fma_f64 v[20:21], v[20:21], v[0:1], v[40:41]
	v_fma_f64 v[22:23], v[22:23], v[0:1], -v[42:43]
	v_fma_f64 v[24:25], v[24:25], v[4:5], v[44:45]
	v_fma_f64 v[26:27], v[26:27], v[4:5], -v[46:47]
	;; [unrolled: 2-line block ×5, first 2 shown]
	ds_write_b128 v130, v[20:23]
	ds_write_b128 v130, v[24:27] offset:4000
	ds_write_b128 v130, v[28:31] offset:8000
	;; [unrolled: 1-line block ×4, first 2 shown]
	s_waitcnt lgkmcnt(0)
	s_barrier
	buffer_gl0_inv
	ds_read_b128 v[20:23], v130 offset:8000
	ds_read_b128 v[24:27], v130 offset:12000
	;; [unrolled: 1-line block ×4, first 2 shown]
	ds_read_b128 v[36:39], v130
	s_waitcnt lgkmcnt(0)
	s_barrier
	buffer_gl0_inv
	v_add_f64 v[40:41], v[20:21], v[24:25]
	v_add_f64 v[44:45], v[22:23], v[26:27]
	;; [unrolled: 1-line block ×5, first 2 shown]
	v_add_f64 v[50:51], v[34:35], -v[30:31]
	v_add_f64 v[52:53], v[22:23], -v[26:27]
	v_add_f64 v[54:55], v[38:39], v[34:35]
	v_add_f64 v[56:57], v[32:33], -v[28:29]
	v_add_f64 v[58:59], v[28:29], -v[24:25]
	v_add_f64 v[60:61], v[24:25], -v[28:29]
	v_add_f64 v[62:63], v[34:35], -v[22:23]
	v_add_f64 v[64:65], v[30:31], -v[26:27]
	v_add_f64 v[34:35], v[22:23], -v[34:35]
	v_add_f64 v[66:67], v[26:27], -v[30:31]
	v_fma_f64 v[40:41], v[40:41], -0.5, v[36:37]
	v_fma_f64 v[44:45], v[44:45], -0.5, v[38:39]
	;; [unrolled: 1-line block ×3, first 2 shown]
	v_add_f64 v[42:43], v[20:21], -v[24:25]
	v_fma_f64 v[38:39], v[46:47], -0.5, v[38:39]
	v_add_f64 v[46:47], v[32:33], -v[20:21]
	v_add_f64 v[32:33], v[20:21], -v[32:33]
	v_add_f64 v[20:21], v[48:49], v[20:21]
	v_add_f64 v[22:23], v[54:55], v[22:23]
	;; [unrolled: 1-line block ×4, first 2 shown]
	v_fma_f64 v[48:49], v[50:51], s[0:1], v[40:41]
	v_fma_f64 v[40:41], v[50:51], s[12:13], v[40:41]
	;; [unrolled: 1-line block ×8, first 2 shown]
	v_add_f64 v[46:47], v[46:47], v[58:59]
	v_add_f64 v[32:33], v[32:33], v[60:61]
	v_add_f64 v[20:21], v[20:21], v[24:25]
	v_add_f64 v[22:23], v[22:23], v[26:27]
	v_fma_f64 v[24:25], v[52:53], s[14:15], v[48:49]
	v_fma_f64 v[26:27], v[52:53], s[16:17], v[40:41]
	;; [unrolled: 1-line block ×8, first 2 shown]
	v_add_f64 v[56:57], v[20:21], v[28:29]
	v_add_f64 v[58:59], v[22:23], v[30:31]
	v_mov_b32_e32 v20, 4
	v_mul_lo_u16 v21, v78, 5
	v_lshlrev_b32_sdwa v133, v20, v21 dst_sel:DWORD dst_unused:UNUSED_PAD src0_sel:DWORD src1_sel:WORD_0
	v_fma_f64 v[60:61], v[46:47], s[18:19], v[24:25]
	v_fma_f64 v[68:69], v[46:47], s[18:19], v[26:27]
	;; [unrolled: 1-line block ×8, first 2 shown]
                                        ; implicit-def: $vgpr76_vgpr77
	ds_write_b128 v133, v[56:59]
	ds_write_b128 v133, v[60:63] offset:16
	ds_write_b128 v133, v[64:67] offset:32
	;; [unrolled: 1-line block ×4, first 2 shown]
	s_waitcnt lgkmcnt(0)
	s_barrier
	buffer_gl0_inv
	s_and_saveexec_b32 s4, vcc_lo
	s_cbranch_execz .LBB0_3
; %bb.2:
	ds_read_b128 v[56:59], v130
	ds_read_b128 v[60:63], v130 offset:2000
	ds_read_b128 v[64:67], v130 offset:4000
	;; [unrolled: 1-line block ×9, first 2 shown]
.LBB0_3:
	s_or_b32 exec_lo, exec_lo, s4
	v_and_b32_e32 v118, 0xff, v129
	s_mov_b32 s4, 0x9b97f4a8
	s_mov_b32 s5, 0x3fe9e377
	v_mul_lo_u16 v20, 0xcd, v118
	v_lshrrev_b16 v131, 10, v20
	v_mul_lo_u16 v20, v131, 5
	v_sub_nc_u16 v20, v129, v20
	v_and_b32_e32 v132, 0xff, v20
	v_mad_u64_u32 v[40:41], null, 0x90, v132, s[2:3]
	s_clause 0x8
	global_load_dwordx4 v[20:23], v[40:41], off offset:32
	global_load_dwordx4 v[28:31], v[40:41], off offset:64
	;; [unrolled: 1-line block ×4, first 2 shown]
	global_load_dwordx4 v[24:27], v[40:41], off
	global_load_dwordx4 v[52:55], v[40:41], off offset:16
	global_load_dwordx4 v[32:35], v[40:41], off offset:48
	;; [unrolled: 1-line block ×4, first 2 shown]
	s_waitcnt vmcnt(0) lgkmcnt(0)
	s_barrier
	buffer_gl0_inv
	v_mul_f64 v[96:97], v[74:75], v[22:23]
	v_mul_f64 v[98:99], v[72:73], v[22:23]
	;; [unrolled: 1-line block ×18, first 2 shown]
	v_fma_f64 v[72:73], v[72:73], v[20:21], -v[96:97]
	v_fma_f64 v[74:75], v[74:75], v[20:21], v[98:99]
	v_fma_f64 v[76:77], v[76:77], v[28:29], -v[100:101]
	v_fma_f64 v[78:79], v[78:79], v[28:29], v[102:103]
	v_fma_f64 v[86:87], v[86:87], v[44:45], v[104:105]
	v_fma_f64 v[84:85], v[84:85], v[44:45], -v[106:107]
	v_fma_f64 v[94:95], v[94:95], v[48:49], v[108:109]
	v_fma_f64 v[92:93], v[92:93], v[48:49], -v[110:111]
	v_fma_f64 v[60:61], v[60:61], v[24:25], -v[112:113]
	v_fma_f64 v[62:63], v[62:63], v[24:25], v[114:115]
	v_fma_f64 v[64:65], v[64:65], v[52:53], -v[119:120]
	v_fma_f64 v[66:67], v[66:67], v[52:53], v[121:122]
	v_fma_f64 v[68:69], v[68:69], v[32:33], -v[123:124]
	v_fma_f64 v[70:71], v[70:71], v[32:33], v[125:126]
	v_fma_f64 v[80:81], v[80:81], v[36:37], -v[134:135]
	v_fma_f64 v[88:89], v[88:89], v[40:41], -v[136:137]
	v_fma_f64 v[82:83], v[82:83], v[36:37], v[138:139]
	v_fma_f64 v[90:91], v[90:91], v[40:41], v[140:141]
	v_add_f64 v[150:151], v[72:73], -v[76:77]
	v_add_f64 v[154:155], v[76:77], -v[72:73]
	v_add_f64 v[96:97], v[78:79], v[86:87]
	v_add_f64 v[98:99], v[76:77], v[84:85]
	;; [unrolled: 1-line block ×4, first 2 shown]
	v_add_f64 v[112:113], v[76:77], -v[84:85]
	v_add_f64 v[114:115], v[78:79], -v[86:87]
	;; [unrolled: 1-line block ×6, first 2 shown]
	v_add_f64 v[104:105], v[68:69], v[80:81]
	v_add_f64 v[106:107], v[64:65], v[88:89]
	;; [unrolled: 1-line block ×4, first 2 shown]
	v_add_f64 v[158:159], v[74:75], -v[78:79]
	v_add_f64 v[160:161], v[94:95], -v[86:87]
	;; [unrolled: 1-line block ×4, first 2 shown]
	v_add_f64 v[123:124], v[56:57], v[64:65]
	v_add_f64 v[125:126], v[58:59], v[66:67]
	v_add_f64 v[134:135], v[64:65], -v[68:69]
	v_add_f64 v[136:137], v[88:89], -v[80:81]
	v_fma_f64 v[96:97], v[96:97], -0.5, v[62:63]
	v_fma_f64 v[98:99], v[98:99], -0.5, v[60:61]
	;; [unrolled: 1-line block ×4, first 2 shown]
	v_add_f64 v[138:139], v[68:69], -v[64:65]
	v_add_f64 v[142:143], v[66:67], -v[70:71]
	;; [unrolled: 1-line block ×5, first 2 shown]
	v_add_f64 v[60:61], v[60:61], v[72:73]
	v_add_f64 v[62:63], v[62:63], v[74:75]
	v_add_f64 v[64:65], v[64:65], -v[88:89]
	v_add_f64 v[66:67], v[66:67], -v[90:91]
	v_fma_f64 v[72:73], v[104:105], -0.5, v[56:57]
	v_fma_f64 v[56:57], v[106:107], -0.5, v[56:57]
	;; [unrolled: 1-line block ×4, first 2 shown]
	v_add_f64 v[104:105], v[150:151], v[152:153]
	v_add_f64 v[106:107], v[154:155], v[156:157]
	;; [unrolled: 1-line block ×4, first 2 shown]
	v_add_f64 v[140:141], v[80:81], -v[88:89]
	v_fma_f64 v[166:167], v[119:120], s[12:13], v[96:97]
	v_fma_f64 v[168:169], v[121:122], s[0:1], v[98:99]
	;; [unrolled: 1-line block ×8, first 2 shown]
	v_add_f64 v[144:145], v[90:91], -v[82:83]
	v_add_f64 v[148:149], v[82:83], -v[90:91]
	v_add_f64 v[68:69], v[123:124], v[68:69]
	v_add_f64 v[70:71], v[125:126], v[70:71]
	;; [unrolled: 1-line block ×4, first 2 shown]
	v_fma_f64 v[76:77], v[66:67], s[0:1], v[72:73]
	v_fma_f64 v[72:73], v[66:67], s[12:13], v[72:73]
	;; [unrolled: 1-line block ×12, first 2 shown]
	v_add_f64 v[112:113], v[134:135], v[136:137]
	v_fma_f64 v[119:120], v[64:65], s[12:13], v[74:75]
	v_fma_f64 v[74:75], v[64:65], s[0:1], v[74:75]
	;; [unrolled: 1-line block ×4, first 2 shown]
	v_add_f64 v[114:115], v[138:139], v[140:141]
	v_add_f64 v[68:69], v[68:69], v[80:81]
	v_add_f64 v[70:71], v[70:71], v[82:83]
	v_add_f64 v[60:61], v[60:61], v[84:85]
	v_add_f64 v[62:63], v[62:63], v[86:87]
	v_fma_f64 v[80:81], v[176:177], s[14:15], v[76:77]
	v_fma_f64 v[72:73], v[176:177], s[16:17], v[72:73]
	;; [unrolled: 1-line block ×12, first 2 shown]
	v_add_f64 v[104:105], v[142:143], v[144:145]
	v_add_f64 v[106:107], v[146:147], v[148:149]
	v_fma_f64 v[82:83], v[174:175], s[16:17], v[119:120]
	v_fma_f64 v[84:85], v[174:175], s[14:15], v[74:75]
	;; [unrolled: 1-line block ×4, first 2 shown]
	v_add_f64 v[58:59], v[68:69], v[88:89]
	v_add_f64 v[74:75], v[70:71], v[90:91]
	v_add_f64 v[60:61], v[60:61], v[92:93]
	v_add_f64 v[76:77], v[62:63], v[94:95]
	v_fma_f64 v[62:63], v[112:113], s[18:19], v[80:81]
	v_fma_f64 v[56:57], v[112:113], s[18:19], v[72:73]
	;; [unrolled: 1-line block ×4, first 2 shown]
	v_mul_f64 v[119:120], v[123:124], s[14:15]
	v_mul_f64 v[121:122], v[125:126], s[16:17]
	;; [unrolled: 1-line block ×8, first 2 shown]
	v_fma_f64 v[80:81], v[104:105], s[18:19], v[82:83]
	v_fma_f64 v[108:109], v[104:105], s[18:19], v[84:85]
	;; [unrolled: 1-line block ×4, first 2 shown]
	v_add_f64 v[92:93], v[58:59], -v[60:61]
	v_add_f64 v[94:95], v[74:75], -v[76:77]
	v_fma_f64 v[66:67], v[125:126], s[4:5], v[119:120]
	v_fma_f64 v[84:85], v[123:124], s[4:5], v[121:122]
	;; [unrolled: 1-line block ×4, first 2 shown]
	v_fma_f64 v[78:79], v[100:101], s[0:1], -v[142:143]
	v_fma_f64 v[112:113], v[102:103], s[12:13], -v[144:145]
	;; [unrolled: 1-line block ×4, first 2 shown]
	v_add_f64 v[88:89], v[62:63], -v[66:67]
	v_add_f64 v[90:91], v[80:81], -v[84:85]
	;; [unrolled: 1-line block ×8, first 2 shown]
	s_and_saveexec_b32 s0, vcc_lo
	s_cbranch_execz .LBB0_5
; %bb.4:
	v_add_f64 v[82:83], v[82:83], v[110:111]
	v_add_f64 v[110:111], v[80:81], v[84:85]
	;; [unrolled: 1-line block ×9, first 2 shown]
	v_mov_b32_e32 v58, 50
	v_add_f64 v[112:113], v[56:57], v[70:71]
	v_mul_u32_u24_sdwa v56, v131, v58 dst_sel:DWORD dst_unused:UNUSED_PAD src0_sel:WORD_0 src1_sel:DWORD
	v_add_lshl_u32 v56, v56, v132, 4
	ds_write_b128 v56, v[92:95] offset:400
	ds_write_b128 v56, v[88:91] offset:480
	;; [unrolled: 1-line block ×4, first 2 shown]
	ds_write_b128 v56, v[72:75]
	ds_write_b128 v56, v[108:111] offset:80
	ds_write_b128 v56, v[80:83] offset:160
	;; [unrolled: 1-line block ×5, first 2 shown]
.LBB0_5:
	s_or_b32 exec_lo, exec_lo, s0
	v_mul_lo_u16 v56, v118, 41
	s_waitcnt lgkmcnt(0)
	s_barrier
	buffer_gl0_inv
	s_mov_b32 s12, 0x134454ff
	v_lshrrev_b16 v152, 11, v56
	s_mov_b32 s13, 0x3fee6f0e
	s_mov_b32 s15, 0xbfee6f0e
	s_mov_b32 s14, s12
	s_mov_b32 s18, 0x4755a5e
	v_mul_lo_u16 v56, v152, 50
	s_mov_b32 s19, 0x3fe2cf23
	s_mov_b32 s16, s18
	;; [unrolled: 1-line block ×4, first 2 shown]
	v_sub_nc_u16 v56, v129, v56
	v_and_b32_e32 v153, 0xff, v56
	v_lshlrev_b32_e32 v56, 6, v153
	s_clause 0x3
	global_load_dwordx4 v[68:71], v56, s[2:3] offset:720
	global_load_dwordx4 v[64:67], v56, s[2:3] offset:736
	;; [unrolled: 1-line block ×4, first 2 shown]
	ds_read_b128 v[72:75], v130 offset:4000
	ds_read_b128 v[76:79], v130 offset:8000
	ds_read_b128 v[80:83], v130 offset:12000
	ds_read_b128 v[84:87], v130 offset:16000
	s_waitcnt vmcnt(3) lgkmcnt(3)
	v_mul_f64 v[108:109], v[74:75], v[70:71]
	s_waitcnt vmcnt(2) lgkmcnt(2)
	v_mul_f64 v[110:111], v[78:79], v[66:67]
	;; [unrolled: 2-line block ×4, first 2 shown]
	v_mul_f64 v[120:121], v[76:77], v[66:67]
	v_mul_f64 v[122:123], v[80:81], v[62:63]
	;; [unrolled: 1-line block ×4, first 2 shown]
	v_fma_f64 v[108:109], v[72:73], v[68:69], -v[108:109]
	v_fma_f64 v[76:77], v[76:77], v[64:65], -v[110:111]
	v_fma_f64 v[80:81], v[80:81], v[60:61], -v[112:113]
	v_fma_f64 v[84:85], v[84:85], v[56:57], -v[118:119]
	v_fma_f64 v[78:79], v[78:79], v[64:65], v[120:121]
	v_fma_f64 v[82:83], v[82:83], v[60:61], v[122:123]
	;; [unrolled: 1-line block ×4, first 2 shown]
	ds_read_b128 v[72:75], v130
	s_waitcnt lgkmcnt(0)
	s_barrier
	buffer_gl0_inv
	v_add_f64 v[112:113], v[76:77], v[80:81]
	v_add_f64 v[114:115], v[108:109], v[84:85]
	v_add_f64 v[136:137], v[108:109], -v[84:85]
	v_add_f64 v[118:119], v[78:79], v[82:83]
	v_add_f64 v[122:123], v[72:73], v[108:109]
	;; [unrolled: 1-line block ×4, first 2 shown]
	v_add_f64 v[124:125], v[110:111], -v[86:87]
	v_add_f64 v[126:127], v[78:79], -v[82:83]
	;; [unrolled: 1-line block ×8, first 2 shown]
	v_fma_f64 v[112:113], v[112:113], -0.5, v[72:73]
	v_fma_f64 v[72:73], v[114:115], -0.5, v[72:73]
	v_add_f64 v[114:115], v[76:77], -v[80:81]
	v_fma_f64 v[118:119], v[118:119], -0.5, v[74:75]
	v_fma_f64 v[74:75], v[120:121], -0.5, v[74:75]
	v_add_f64 v[120:121], v[108:109], -v[76:77]
	v_add_f64 v[108:109], v[76:77], -v[108:109]
	v_add_f64 v[76:77], v[122:123], v[76:77]
	v_add_f64 v[78:79], v[134:135], v[78:79]
	v_add_f64 v[110:111], v[110:111], v[146:147]
	v_fma_f64 v[122:123], v[124:125], s[12:13], v[112:113]
	v_fma_f64 v[112:113], v[124:125], s[14:15], v[112:113]
	;; [unrolled: 1-line block ×8, first 2 shown]
	v_add_f64 v[76:77], v[76:77], v[80:81]
	v_add_f64 v[78:79], v[78:79], v[82:83]
	;; [unrolled: 1-line block ×5, first 2 shown]
	v_fma_f64 v[80:81], v[126:127], s[18:19], v[122:123]
	v_fma_f64 v[82:83], v[126:127], s[16:17], v[112:113]
	;; [unrolled: 1-line block ×8, first 2 shown]
	v_add_f64 v[72:73], v[76:77], v[84:85]
	v_add_f64 v[74:75], v[78:79], v[86:87]
	v_lshlrev_b32_e32 v119, 6, v129
	v_mov_b32_e32 v118, 0xfa
	v_mul_u32_u24_sdwa v118, v152, v118 dst_sel:DWORD dst_unused:UNUSED_PAD src0_sel:WORD_0 src1_sel:DWORD
	v_fma_f64 v[76:77], v[120:121], s[20:21], v[80:81]
	v_fma_f64 v[80:81], v[120:121], s[20:21], v[82:83]
	;; [unrolled: 1-line block ×8, first 2 shown]
	v_add_co_u32 v113, s0, s2, v119
	v_add_co_ci_u32_e64 v115, null, s3, 0, s0
	v_add_lshl_u32 v134, v118, v153, 4
	v_add_co_u32 v112, s0, 0xf50, v113
	v_add_co_u32 v114, s1, 0x800, v113
	v_add_co_ci_u32_e64 v113, s0, 0, v115, s0
	v_add_co_ci_u32_e64 v115, s0, 0, v115, s1
	ds_write_b128 v134, v[72:75]
	ds_write_b128 v134, v[76:79] offset:800
	ds_write_b128 v134, v[84:87] offset:1600
	;; [unrolled: 1-line block ×4, first 2 shown]
	s_waitcnt lgkmcnt(0)
	s_barrier
	buffer_gl0_inv
	s_clause 0x3
	global_load_dwordx4 v[72:75], v[114:115], off offset:1872
	global_load_dwordx4 v[84:87], v[112:113], off offset:16
	;; [unrolled: 1-line block ×4, first 2 shown]
	ds_read_b128 v[108:111], v130 offset:4000
	ds_read_b128 v[112:115], v130 offset:8000
	;; [unrolled: 1-line block ×4, first 2 shown]
	s_waitcnt vmcnt(3) lgkmcnt(3)
	v_mul_f64 v[126:127], v[110:111], v[74:75]
	s_waitcnt vmcnt(2) lgkmcnt(2)
	v_mul_f64 v[135:136], v[114:115], v[86:87]
	;; [unrolled: 2-line block ×3, first 2 shown]
	v_mul_f64 v[143:144], v[112:113], v[86:87]
	v_mul_f64 v[145:146], v[118:119], v[82:83]
	;; [unrolled: 1-line block ×3, first 2 shown]
	s_waitcnt vmcnt(0) lgkmcnt(0)
	v_mul_f64 v[141:142], v[124:125], v[78:79]
	v_mul_f64 v[147:148], v[122:123], v[78:79]
	v_fma_f64 v[126:127], v[108:109], v[72:73], -v[126:127]
	v_fma_f64 v[112:113], v[112:113], v[84:85], -v[135:136]
	;; [unrolled: 1-line block ×3, first 2 shown]
	v_fma_f64 v[114:115], v[114:115], v[84:85], v[143:144]
	v_fma_f64 v[120:121], v[120:121], v[80:81], v[145:146]
	;; [unrolled: 1-line block ×3, first 2 shown]
	v_fma_f64 v[122:123], v[122:123], v[76:77], -v[141:142]
	v_fma_f64 v[124:125], v[124:125], v[76:77], v[147:148]
	ds_read_b128 v[108:111], v130
	v_add_f64 v[137:138], v[112:113], v[118:119]
	v_add_f64 v[141:142], v[114:115], v[120:121]
	v_add_f64 v[149:150], v[114:115], -v[120:121]
	v_add_f64 v[139:140], v[126:127], v[122:123]
	v_add_f64 v[143:144], v[135:136], v[124:125]
	s_waitcnt lgkmcnt(0)
	v_add_f64 v[145:146], v[108:109], v[126:127]
	v_add_f64 v[151:152], v[110:111], v[135:136]
	v_add_f64 v[147:148], v[135:136], -v[124:125]
	v_add_f64 v[153:154], v[126:127], -v[122:123]
	;; [unrolled: 1-line block ×8, first 2 shown]
	v_fma_f64 v[137:138], v[137:138], -0.5, v[108:109]
	v_fma_f64 v[141:142], v[141:142], -0.5, v[110:111]
	v_fma_f64 v[108:109], v[139:140], -0.5, v[108:109]
	v_add_f64 v[139:140], v[112:113], -v[118:119]
	v_fma_f64 v[110:111], v[143:144], -0.5, v[110:111]
	v_add_f64 v[143:144], v[126:127], -v[112:113]
	v_add_f64 v[126:127], v[112:113], -v[126:127]
	v_add_f64 v[112:113], v[145:146], v[112:113]
	v_add_f64 v[114:115], v[151:152], v[114:115]
	v_fma_f64 v[145:146], v[147:148], s[12:13], v[137:138]
	v_fma_f64 v[137:138], v[147:148], s[14:15], v[137:138]
	;; [unrolled: 1-line block ×8, first 2 shown]
	v_add_f64 v[143:144], v[143:144], v[155:156]
	v_add_f64 v[112:113], v[112:113], v[118:119]
	;; [unrolled: 1-line block ×6, first 2 shown]
	v_fma_f64 v[118:119], v[149:150], s[18:19], v[145:146]
	v_fma_f64 v[120:121], v[149:150], s[16:17], v[137:138]
	;; [unrolled: 1-line block ×8, first 2 shown]
	v_add_co_u32 v141, s2, 0x6800, v117
	v_add_f64 v[108:109], v[112:113], v[122:123]
	v_add_f64 v[110:111], v[114:115], v[124:125]
	v_fma_f64 v[112:113], v[143:144], s[20:21], v[118:119]
	v_fma_f64 v[118:119], v[143:144], s[20:21], v[120:121]
	;; [unrolled: 1-line block ×8, first 2 shown]
	v_add_co_u32 v126, s0, 0x4800, v117
	v_add_co_u32 v139, s1, 0x5800, v117
	v_add_co_ci_u32_e64 v127, s0, 0, v116, s0
	v_add_co_ci_u32_e64 v140, s0, 0, v116, s1
	v_add_co_u32 v143, s3, 0x7800, v117
	v_add_co_u32 v145, s4, 0x8800, v117
	v_add_co_ci_u32_e64 v142, s0, 0, v116, s2
	v_add_co_ci_u32_e64 v144, s0, 0, v116, s3
	ds_write_b128 v130, v[108:111]
	ds_write_b128 v130, v[112:115] offset:4000
	ds_write_b128 v130, v[122:125] offset:8000
	;; [unrolled: 1-line block ×4, first 2 shown]
	s_waitcnt lgkmcnt(0)
	s_barrier
	buffer_gl0_inv
	s_clause 0x1
	global_load_dwordx4 v[108:111], v[126:127], off offset:1568
	global_load_dwordx4 v[112:115], v[139:140], off offset:1472
	v_add_co_ci_u32_e64 v146, s0, 0, v116, s4
	s_clause 0x2
	global_load_dwordx4 v[116:119], v[141:142], off offset:1376
	global_load_dwordx4 v[120:123], v[143:144], off offset:1280
	;; [unrolled: 1-line block ×3, first 2 shown]
	ds_read_b128 v[135:138], v130
	ds_read_b128 v[139:142], v130 offset:4000
	ds_read_b128 v[143:146], v130 offset:8000
	;; [unrolled: 1-line block ×4, first 2 shown]
	s_waitcnt vmcnt(4) lgkmcnt(4)
	v_mul_f64 v[155:156], v[137:138], v[110:111]
	v_mul_f64 v[110:111], v[135:136], v[110:111]
	s_waitcnt vmcnt(3) lgkmcnt(3)
	v_mul_f64 v[157:158], v[141:142], v[114:115]
	v_mul_f64 v[114:115], v[139:140], v[114:115]
	;; [unrolled: 3-line block ×5, first 2 shown]
	v_fma_f64 v[135:136], v[135:136], v[108:109], -v[155:156]
	v_fma_f64 v[137:138], v[137:138], v[108:109], v[110:111]
	v_fma_f64 v[108:109], v[139:140], v[112:113], -v[157:158]
	v_fma_f64 v[110:111], v[141:142], v[112:113], v[114:115]
	;; [unrolled: 2-line block ×5, first 2 shown]
	ds_write_b128 v130, v[135:138]
	ds_write_b128 v130, v[108:111] offset:4000
	ds_write_b128 v130, v[112:115] offset:8000
	;; [unrolled: 1-line block ×4, first 2 shown]
	s_waitcnt lgkmcnt(0)
	s_barrier
	buffer_gl0_inv
	ds_read_b128 v[108:111], v130 offset:8000
	ds_read_b128 v[112:115], v130 offset:12000
	;; [unrolled: 1-line block ×4, first 2 shown]
	ds_read_b128 v[124:127], v130
	s_waitcnt lgkmcnt(0)
	s_barrier
	buffer_gl0_inv
	v_add_f64 v[135:136], v[108:109], v[112:113]
	v_add_f64 v[139:140], v[110:111], v[114:115]
	;; [unrolled: 1-line block ×5, first 2 shown]
	v_add_f64 v[145:146], v[118:119], -v[122:123]
	v_add_f64 v[147:148], v[110:111], -v[114:115]
	v_add_f64 v[149:150], v[126:127], v[118:119]
	v_add_f64 v[151:152], v[116:117], -v[120:121]
	v_add_f64 v[153:154], v[120:121], -v[112:113]
	;; [unrolled: 1-line block ×7, first 2 shown]
	v_fma_f64 v[135:136], v[135:136], -0.5, v[124:125]
	v_fma_f64 v[139:140], v[139:140], -0.5, v[126:127]
	;; [unrolled: 1-line block ×3, first 2 shown]
	v_add_f64 v[137:138], v[108:109], -v[112:113]
	v_fma_f64 v[126:127], v[141:142], -0.5, v[126:127]
	v_add_f64 v[141:142], v[116:117], -v[108:109]
	v_add_f64 v[116:117], v[108:109], -v[116:117]
	v_add_f64 v[108:109], v[143:144], v[108:109]
	v_add_f64 v[110:111], v[149:150], v[110:111]
	;; [unrolled: 1-line block ×3, first 2 shown]
	v_fma_f64 v[143:144], v[145:146], s[14:15], v[135:136]
	v_fma_f64 v[135:136], v[145:146], s[12:13], v[135:136]
	;; [unrolled: 1-line block ×8, first 2 shown]
	v_add_f64 v[141:142], v[141:142], v[153:154]
	v_add_f64 v[153:154], v[116:117], v[155:156]
	;; [unrolled: 1-line block ×5, first 2 shown]
	v_fma_f64 v[112:113], v[147:148], s[16:17], v[143:144]
	v_fma_f64 v[114:115], v[147:148], s[18:19], v[135:136]
	v_fma_f64 v[135:136], v[145:146], s[16:17], v[149:150]
	v_fma_f64 v[124:125], v[145:146], s[18:19], v[124:125]
	v_fma_f64 v[143:144], v[137:138], s[18:19], v[163:164]
	v_fma_f64 v[145:146], v[151:152], s[18:19], v[165:166]
	v_fma_f64 v[126:127], v[151:152], s[16:17], v[126:127]
	v_fma_f64 v[137:138], v[137:138], s[16:17], v[139:140]
	v_add_f64 v[108:109], v[108:109], v[120:121]
	v_add_f64 v[110:111], v[110:111], v[122:123]
	v_fma_f64 v[112:113], v[141:142], s[20:21], v[112:113]
	v_fma_f64 v[116:117], v[141:142], s[20:21], v[114:115]
	;; [unrolled: 1-line block ×8, first 2 shown]
	ds_write_b128 v133, v[108:111]
	ds_write_b128 v133, v[112:115] offset:16
	ds_write_b128 v133, v[120:123] offset:32
	;; [unrolled: 1-line block ×4, first 2 shown]
	s_waitcnt lgkmcnt(0)
	s_barrier
	buffer_gl0_inv
	s_and_saveexec_b32 s0, vcc_lo
	s_cbranch_execz .LBB0_7
; %bb.6:
	ds_read_b128 v[108:111], v130
	ds_read_b128 v[112:115], v130 offset:2000
	ds_read_b128 v[120:123], v130 offset:4000
	;; [unrolled: 1-line block ×9, first 2 shown]
.LBB0_7:
	s_or_b32 exec_lo, exec_lo, s0
	s_waitcnt lgkmcnt(0)
	s_barrier
	buffer_gl0_inv
	s_and_saveexec_b32 s22, vcc_lo
	s_cbranch_execz .LBB0_9
; %bb.8:
	v_mul_f64 v[135:136], v[22:23], v[124:125]
	v_mul_f64 v[137:138], v[30:31], v[92:93]
	;; [unrolled: 1-line block ×18, first 2 shown]
	s_mov_b32 s2, 0x134454ff
	s_mov_b32 s3, 0xbfee6f0e
	;; [unrolled: 1-line block ×4, first 2 shown]
	v_fma_f64 v[126:127], v[20:21], v[126:127], -v[135:136]
	v_fma_f64 v[94:95], v[28:29], v[94:95], -v[137:138]
	;; [unrolled: 1-line block ×4, first 2 shown]
	v_fma_f64 v[20:21], v[20:21], v[124:125], v[22:23]
	v_fma_f64 v[22:23], v[28:29], v[92:93], v[30:31]
	;; [unrolled: 1-line block ×4, first 2 shown]
	v_fma_f64 v[46:47], v[24:25], v[114:115], -v[151:152]
	v_fma_f64 v[122:123], v[52:53], v[122:123], -v[143:144]
	;; [unrolled: 1-line block ×5, first 2 shown]
	v_fma_f64 v[44:45], v[52:53], v[120:121], v[54:55]
	v_fma_f64 v[40:41], v[40:41], v[96:97], v[42:43]
	v_fma_f64 v[32:33], v[32:33], v[116:117], v[34:35]
	v_fma_f64 v[34:35], v[36:37], v[88:89], v[38:39]
	v_fma_f64 v[24:25], v[24:25], v[112:113], v[26:27]
	s_mov_b32 s4, 0x4755a5e
	s_mov_b32 s5, 0xbfe2cf23
	;; [unrolled: 1-line block ×5, first 2 shown]
	v_add_f64 v[116:117], v[126:127], -v[94:95]
	v_add_f64 v[48:49], v[94:95], v[102:103]
	v_add_f64 v[50:51], v[126:127], v[106:107]
	v_add_f64 v[112:113], v[126:127], -v[106:107]
	v_add_f64 v[114:115], v[94:95], -v[102:103]
	v_add_f64 v[42:43], v[20:21], v[30:31]
	v_add_f64 v[38:39], v[22:23], v[28:29]
	v_add_f64 v[52:53], v[20:21], -v[30:31]
	v_add_f64 v[54:55], v[22:23], -v[28:29]
	;; [unrolled: 1-line block ×3, first 2 shown]
	v_add_f64 v[137:138], v[122:123], v[98:99]
	v_add_f64 v[88:89], v[118:119], v[90:91]
	v_add_f64 v[143:144], v[94:95], -v[126:127]
	v_add_f64 v[145:146], v[102:103], -v[106:107]
	v_add_f64 v[153:154], v[44:45], v[40:41]
	v_add_f64 v[151:152], v[32:33], v[34:35]
	v_add_f64 v[92:93], v[44:45], -v[40:41]
	v_add_f64 v[100:101], v[20:21], -v[22:23]
	;; [unrolled: 1-line block ×3, first 2 shown]
	v_add_f64 v[147:148], v[110:111], v[122:123]
	v_add_f64 v[155:156], v[44:45], -v[32:33]
	v_add_f64 v[161:162], v[32:33], -v[44:45]
	v_add_f64 v[44:45], v[108:109], v[44:45]
	v_fma_f64 v[48:49], v[48:49], -0.5, v[46:47]
	v_fma_f64 v[50:51], v[50:51], -0.5, v[46:47]
	v_add_f64 v[46:47], v[46:47], v[126:127]
	v_add_f64 v[20:21], v[24:25], v[20:21]
	v_fma_f64 v[42:43], v[42:43], -0.5, v[24:25]
	v_fma_f64 v[38:39], v[38:39], -0.5, v[24:25]
	v_add_f64 v[26:27], v[122:123], -v[118:119]
	v_add_f64 v[36:37], v[98:99], -v[90:91]
	;; [unrolled: 1-line block ×6, first 2 shown]
	v_fma_f64 v[24:25], v[88:89], -0.5, v[110:111]
	v_fma_f64 v[88:89], v[137:138], -0.5, v[110:111]
	v_add_f64 v[110:111], v[116:117], v[120:121]
	v_add_f64 v[116:117], v[143:144], v[145:146]
	v_add_f64 v[141:142], v[28:29], -v[30:31]
	v_add_f64 v[159:160], v[118:119], -v[90:91]
	s_mov_b32 s1, 0x3fd3c6ef
	v_add_f64 v[135:136], v[90:91], -v[98:99]
	v_add_f64 v[157:158], v[40:41], -v[34:35]
	v_add_f64 v[32:33], v[44:45], v[32:33]
	v_fma_f64 v[126:127], v[52:53], s[2:3], v[48:49]
	v_fma_f64 v[149:150], v[54:55], s[16:17], v[50:51]
	v_fma_f64 v[50:51], v[54:55], s[2:3], v[50:51]
	v_fma_f64 v[48:49], v[52:53], s[16:17], v[48:49]
	v_fma_f64 v[137:138], v[114:115], s[2:3], v[42:43]
	v_fma_f64 v[120:121], v[112:113], s[16:17], v[38:39]
	v_fma_f64 v[42:43], v[114:115], s[16:17], v[42:43]
	v_fma_f64 v[38:39], v[112:113], s[2:3], v[38:39]
	v_add_f64 v[46:47], v[46:47], v[94:95]
	v_add_f64 v[20:21], v[20:21], v[22:23]
	;; [unrolled: 1-line block ×4, first 2 shown]
	v_fma_f64 v[22:23], v[92:93], s[2:3], v[24:25]
	v_fma_f64 v[44:45], v[96:97], s[16:17], v[88:89]
	;; [unrolled: 1-line block ×4, first 2 shown]
	v_add_f64 v[163:164], v[34:35], -v[40:41]
	v_add_f64 v[104:105], v[139:140], v[141:142]
	s_mov_b32 s12, 0x9b97f4a8
	s_mov_b32 s13, 0xbfe9e377
	s_mov_b32 s21, 0x3fe9e377
	s_mov_b32 s20, s12
	v_fma_f64 v[126:127], v[54:55], s[4:5], v[126:127]
	v_fma_f64 v[143:144], v[52:53], s[4:5], v[149:150]
	;; [unrolled: 1-line block ×4, first 2 shown]
	v_fma_f64 v[52:53], v[151:152], -0.5, v[108:109]
	v_fma_f64 v[54:55], v[153:154], -0.5, v[108:109]
	v_add_f64 v[108:109], v[147:148], v[118:119]
	v_fma_f64 v[94:95], v[114:115], s[18:19], v[120:121]
	v_fma_f64 v[118:119], v[112:113], s[18:19], v[137:138]
	;; [unrolled: 1-line block ×4, first 2 shown]
	v_add_f64 v[46:47], v[46:47], v[102:103]
	v_add_f64 v[32:33], v[32:33], v[34:35]
	;; [unrolled: 1-line block ×3, first 2 shown]
	s_mov_b32 s15, 0xbfd3c6ef
	s_mov_b32 s14, s0
	v_add_f64 v[100:101], v[124:125], v[135:136]
	v_add_f64 v[120:121], v[155:156], v[157:158]
	v_fma_f64 v[22:23], v[96:97], s[4:5], v[22:23]
	v_fma_f64 v[28:29], v[92:93], s[4:5], v[44:45]
	;; [unrolled: 1-line block ×12, first 2 shown]
	v_add_f64 v[90:91], v[108:109], v[90:91]
	v_fma_f64 v[44:45], v[36:37], s[0:1], v[94:95]
	v_fma_f64 v[36:37], v[36:37], s[0:1], v[38:39]
	v_add_f64 v[124:125], v[161:162], v[163:164]
	v_fma_f64 v[42:43], v[104:105], s[0:1], v[42:43]
	v_fma_f64 v[88:89], v[104:105], s[0:1], v[118:119]
	v_add_f64 v[46:47], v[46:47], v[106:107]
	v_add_f64 v[32:33], v[32:33], v[40:41]
	v_add_f64 v[30:31], v[20:21], v[30:31]
	v_mov_b32_e32 v118, 50
	v_fma_f64 v[40:41], v[26:27], s[0:1], v[22:23]
	v_fma_f64 v[28:29], v[100:101], s[0:1], v[28:29]
	v_mul_f64 v[38:39], v[112:113], s[12:13]
	v_mul_f64 v[92:93], v[114:115], s[14:15]
	;; [unrolled: 1-line block ×5, first 2 shown]
	v_fma_f64 v[52:53], v[159:160], s[4:5], v[52:53]
	v_mul_f64 v[50:51], v[50:51], s[2:3]
	v_fma_f64 v[54:55], v[122:123], s[4:5], v[54:55]
	v_fma_f64 v[104:105], v[122:123], s[18:19], v[116:117]
	v_mul_f64 v[108:109], v[114:115], s[2:3]
	v_fma_f64 v[102:103], v[159:160], s[18:19], v[110:111]
	v_mul_f64 v[110:111], v[112:113], s[4:5]
	v_add_f64 v[90:91], v[90:91], v[98:99]
	v_fma_f64 v[98:99], v[100:101], s[0:1], v[34:35]
	v_fma_f64 v[100:101], v[26:27], s[0:1], v[24:25]
	v_add_f64 v[24:25], v[32:33], v[30:31]
	v_add_f64 v[20:21], v[32:33], -v[30:31]
	v_fma_f64 v[106:107], v[44:45], s[18:19], v[38:39]
	v_fma_f64 v[92:93], v[88:89], s[16:17], v[92:93]
	;; [unrolled: 1-line block ×12, first 2 shown]
	v_add_f64 v[26:27], v[90:91], v[46:47]
	v_add_f64 v[22:23], v[90:91], -v[46:47]
	v_add_f64 v[46:47], v[40:41], v[106:107]
	v_add_f64 v[50:51], v[28:29], v[92:93]
	;; [unrolled: 1-line block ×4, first 2 shown]
	v_add_f64 v[30:31], v[40:41], -v[106:107]
	v_add_f64 v[88:89], v[114:115], v[36:37]
	v_add_f64 v[42:43], v[100:101], -v[96:97]
	v_add_f64 v[52:53], v[112:113], v[116:117]
	;; [unrolled: 2-line block ×4, first 2 shown]
	v_add_f64 v[36:37], v[112:113], -v[116:117]
	v_add_f64 v[34:35], v[28:29], -v[92:93]
	;; [unrolled: 1-line block ×4, first 2 shown]
	v_mul_u32_u24_sdwa v92, v131, v118 dst_sel:DWORD dst_unused:UNUSED_PAD src0_sel:WORD_0 src1_sel:DWORD
	v_add_lshl_u32 v92, v92, v132, 4
	ds_write_b128 v92, v[24:27]
	ds_write_b128 v92, v[20:23] offset:400
	ds_write_b128 v92, v[88:91] offset:80
	;; [unrolled: 1-line block ×9, first 2 shown]
.LBB0_9:
	s_or_b32 exec_lo, exec_lo, s22
	s_waitcnt lgkmcnt(0)
	s_barrier
	buffer_gl0_inv
	ds_read_b128 v[20:23], v130 offset:4000
	ds_read_b128 v[24:27], v130 offset:8000
	;; [unrolled: 1-line block ×4, first 2 shown]
	s_mov_b32 s0, 0x134454ff
	s_mov_b32 s1, 0xbfee6f0e
	;; [unrolled: 1-line block ×10, first 2 shown]
	s_waitcnt lgkmcnt(3)
	v_mul_f64 v[36:37], v[70:71], v[22:23]
	s_waitcnt lgkmcnt(2)
	v_mul_f64 v[38:39], v[66:67], v[26:27]
	;; [unrolled: 2-line block ×4, first 2 shown]
	v_mul_f64 v[46:47], v[66:67], v[24:25]
	v_mul_f64 v[48:49], v[62:63], v[28:29]
	;; [unrolled: 1-line block ×4, first 2 shown]
	v_fma_f64 v[36:37], v[68:69], v[20:21], v[36:37]
	v_fma_f64 v[24:25], v[64:65], v[24:25], v[38:39]
	;; [unrolled: 1-line block ×4, first 2 shown]
	v_fma_f64 v[26:27], v[64:65], v[26:27], -v[46:47]
	v_fma_f64 v[30:31], v[60:61], v[30:31], -v[48:49]
	;; [unrolled: 1-line block ×4, first 2 shown]
	ds_read_b128 v[20:23], v130
	s_waitcnt lgkmcnt(0)
	s_barrier
	buffer_gl0_inv
	v_add_f64 v[40:41], v[24:25], v[28:29]
	v_add_f64 v[42:43], v[36:37], v[32:33]
	v_add_f64 v[56:57], v[36:37], -v[32:33]
	v_add_f64 v[44:45], v[26:27], v[30:31]
	v_add_f64 v[48:49], v[20:21], v[36:37]
	;; [unrolled: 1-line block ×4, first 2 shown]
	v_add_f64 v[50:51], v[38:39], -v[34:35]
	v_add_f64 v[52:53], v[26:27], -v[30:31]
	;; [unrolled: 1-line block ×8, first 2 shown]
	v_fma_f64 v[40:41], v[40:41], -0.5, v[20:21]
	v_fma_f64 v[20:21], v[42:43], -0.5, v[20:21]
	v_add_f64 v[42:43], v[24:25], -v[28:29]
	v_fma_f64 v[44:45], v[44:45], -0.5, v[22:23]
	v_fma_f64 v[22:23], v[46:47], -0.5, v[22:23]
	v_add_f64 v[46:47], v[36:37], -v[24:25]
	v_add_f64 v[36:37], v[24:25], -v[36:37]
	v_add_f64 v[24:25], v[48:49], v[24:25]
	v_add_f64 v[26:27], v[54:55], v[26:27]
	;; [unrolled: 1-line block ×3, first 2 shown]
	v_fma_f64 v[48:49], v[50:51], s[0:1], v[40:41]
	v_fma_f64 v[40:41], v[50:51], s[2:3], v[40:41]
	;; [unrolled: 1-line block ×8, first 2 shown]
	v_add_f64 v[24:25], v[24:25], v[28:29]
	v_add_f64 v[26:27], v[26:27], v[30:31]
	v_add_f64 v[46:47], v[46:47], v[58:59]
	v_add_f64 v[58:59], v[62:63], v[64:65]
	v_add_f64 v[36:37], v[36:37], v[60:61]
	v_fma_f64 v[28:29], v[52:53], s[4:5], v[48:49]
	v_fma_f64 v[30:31], v[52:53], s[12:13], v[40:41]
	;; [unrolled: 1-line block ×8, first 2 shown]
	v_add_f64 v[20:21], v[24:25], v[32:33]
	v_add_f64 v[22:23], v[26:27], v[34:35]
	v_fma_f64 v[24:25], v[46:47], s[14:15], v[28:29]
	v_fma_f64 v[28:29], v[46:47], s[14:15], v[30:31]
	;; [unrolled: 1-line block ×8, first 2 shown]
	ds_write_b128 v134, v[20:23]
	ds_write_b128 v134, v[24:27] offset:800
	ds_write_b128 v134, v[32:35] offset:1600
	ds_write_b128 v134, v[36:39] offset:2400
	ds_write_b128 v134, v[28:31] offset:3200
	s_waitcnt lgkmcnt(0)
	s_barrier
	buffer_gl0_inv
	ds_read_b128 v[20:23], v130 offset:4000
	ds_read_b128 v[24:27], v130 offset:8000
	;; [unrolled: 1-line block ×4, first 2 shown]
	s_waitcnt lgkmcnt(3)
	v_mul_f64 v[36:37], v[74:75], v[22:23]
	s_waitcnt lgkmcnt(2)
	v_mul_f64 v[38:39], v[86:87], v[26:27]
	;; [unrolled: 2-line block ×4, first 2 shown]
	v_mul_f64 v[46:47], v[86:87], v[24:25]
	v_mul_f64 v[48:49], v[82:83], v[28:29]
	;; [unrolled: 1-line block ×4, first 2 shown]
	v_fma_f64 v[36:37], v[72:73], v[20:21], v[36:37]
	v_fma_f64 v[24:25], v[84:85], v[24:25], v[38:39]
	;; [unrolled: 1-line block ×4, first 2 shown]
	v_fma_f64 v[26:27], v[84:85], v[26:27], -v[46:47]
	v_fma_f64 v[30:31], v[80:81], v[30:31], -v[48:49]
	;; [unrolled: 1-line block ×4, first 2 shown]
	ds_read_b128 v[20:23], v130
	v_add_f64 v[40:41], v[24:25], v[28:29]
	v_add_f64 v[42:43], v[36:37], v[32:33]
	v_add_f64 v[56:57], v[36:37], -v[32:33]
	v_add_f64 v[44:45], v[26:27], v[30:31]
	s_waitcnt lgkmcnt(0)
	v_add_f64 v[48:49], v[20:21], v[36:37]
	v_add_f64 v[46:47], v[38:39], v[34:35]
	;; [unrolled: 1-line block ×3, first 2 shown]
	v_add_f64 v[50:51], v[38:39], -v[34:35]
	v_add_f64 v[52:53], v[26:27], -v[30:31]
	;; [unrolled: 1-line block ×8, first 2 shown]
	v_fma_f64 v[40:41], v[40:41], -0.5, v[20:21]
	v_fma_f64 v[20:21], v[42:43], -0.5, v[20:21]
	v_add_f64 v[42:43], v[24:25], -v[28:29]
	v_fma_f64 v[44:45], v[44:45], -0.5, v[22:23]
	v_fma_f64 v[22:23], v[46:47], -0.5, v[22:23]
	v_add_f64 v[46:47], v[36:37], -v[24:25]
	v_add_f64 v[36:37], v[24:25], -v[36:37]
	v_add_f64 v[24:25], v[48:49], v[24:25]
	v_add_f64 v[26:27], v[54:55], v[26:27]
	;; [unrolled: 1-line block ×3, first 2 shown]
	v_fma_f64 v[48:49], v[50:51], s[0:1], v[40:41]
	v_fma_f64 v[40:41], v[50:51], s[2:3], v[40:41]
	;; [unrolled: 1-line block ×8, first 2 shown]
	v_add_f64 v[24:25], v[24:25], v[28:29]
	v_add_f64 v[26:27], v[26:27], v[30:31]
	;; [unrolled: 1-line block ×5, first 2 shown]
	s_mov_b32 s0, 0xeb1c432d
	s_mov_b32 s1, 0x3f4a36e2
	s_mul_i32 s2, s9, 0xfa0
	s_mul_hi_u32 s3, s8, 0xfa0
	s_add_i32 s3, s3, s2
	v_fma_f64 v[28:29], v[52:53], s[4:5], v[48:49]
	v_fma_f64 v[30:31], v[52:53], s[12:13], v[40:41]
	v_fma_f64 v[40:41], v[50:51], s[4:5], v[54:55]
	v_fma_f64 v[48:49], v[50:51], s[12:13], v[20:21]
	v_fma_f64 v[50:51], v[42:43], s[12:13], v[68:69]
	v_fma_f64 v[52:53], v[56:57], s[12:13], v[70:71]
	v_fma_f64 v[54:55], v[56:57], s[4:5], v[22:23]
	v_fma_f64 v[42:43], v[42:43], s[4:5], v[44:45]
	v_add_f64 v[20:21], v[24:25], v[32:33]
	v_add_f64 v[22:23], v[26:27], v[34:35]
	s_mul_i32 s4, s8, 0xfa0
	v_fma_f64 v[24:25], v[46:47], s[14:15], v[28:29]
	v_fma_f64 v[28:29], v[46:47], s[14:15], v[30:31]
	v_fma_f64 v[32:33], v[36:37], s[14:15], v[40:41]
	v_fma_f64 v[36:37], v[36:37], s[14:15], v[48:49]
	v_fma_f64 v[26:27], v[58:59], s[14:15], v[50:51]
	v_fma_f64 v[34:35], v[38:39], s[14:15], v[52:53]
	v_fma_f64 v[38:39], v[38:39], s[14:15], v[54:55]
	v_fma_f64 v[30:31], v[58:59], s[14:15], v[42:43]
	v_mad_u64_u32 v[40:41], null, s10, v128, 0
	v_mad_u64_u32 v[42:43], null, s8, v129, 0
	ds_write_b128 v130, v[20:23]
	ds_write_b128 v130, v[24:27] offset:4000
	ds_write_b128 v130, v[32:35] offset:8000
	;; [unrolled: 1-line block ×4, first 2 shown]
	s_waitcnt lgkmcnt(0)
	s_barrier
	buffer_gl0_inv
	ds_read_b128 v[20:23], v130
	ds_read_b128 v[24:27], v130 offset:4000
	ds_read_b128 v[28:31], v130 offset:8000
	;; [unrolled: 1-line block ×4, first 2 shown]
	v_mad_u64_u32 v[44:45], null, s11, v128, v[41:42]
	v_mad_u64_u32 v[55:56], null, s9, v129, v[43:44]
	v_mov_b32_e32 v41, v44
	v_lshlrev_b64 v[40:41], 4, v[40:41]
	s_waitcnt lgkmcnt(4)
	v_mul_f64 v[45:46], v[2:3], v[22:23]
	v_mul_f64 v[2:3], v[2:3], v[20:21]
	s_waitcnt lgkmcnt(3)
	v_mul_f64 v[47:48], v[6:7], v[26:27]
	v_mul_f64 v[6:7], v[6:7], v[24:25]
	s_waitcnt lgkmcnt(2)
	v_mul_f64 v[49:50], v[10:11], v[30:31]
	v_mul_f64 v[10:11], v[10:11], v[28:29]
	s_waitcnt lgkmcnt(1)
	v_mul_f64 v[51:52], v[14:15], v[34:35]
	v_mul_f64 v[14:15], v[14:15], v[32:33]
	s_waitcnt lgkmcnt(0)
	v_mul_f64 v[53:54], v[18:19], v[38:39]
	v_mul_f64 v[18:19], v[18:19], v[36:37]
	v_mov_b32_e32 v43, v55
	v_fma_f64 v[20:21], v[0:1], v[20:21], v[45:46]
	v_fma_f64 v[2:3], v[0:1], v[22:23], -v[2:3]
	v_fma_f64 v[22:23], v[4:5], v[24:25], v[47:48]
	v_fma_f64 v[6:7], v[4:5], v[26:27], -v[6:7]
	;; [unrolled: 2-line block ×5, first 2 shown]
	v_lshlrev_b64 v[0:1], 4, v[42:43]
	v_add_co_u32 v4, vcc_lo, s6, v40
	v_add_co_ci_u32_e32 v5, vcc_lo, s7, v41, vcc_lo
	v_add_co_u32 v30, vcc_lo, v4, v0
	v_add_co_ci_u32_e32 v31, vcc_lo, v5, v1, vcc_lo
	v_mul_f64 v[0:1], v[20:21], s[0:1]
	v_mul_f64 v[2:3], v[2:3], s[0:1]
	;; [unrolled: 1-line block ×10, first 2 shown]
	v_add_co_u32 v20, vcc_lo, v30, s4
	v_add_co_ci_u32_e32 v21, vcc_lo, s3, v31, vcc_lo
	v_add_co_u32 v22, vcc_lo, v20, s4
	v_add_co_ci_u32_e32 v23, vcc_lo, s3, v21, vcc_lo
	;; [unrolled: 2-line block ×4, first 2 shown]
	global_store_dwordx4 v[30:31], v[0:3], off
	global_store_dwordx4 v[20:21], v[4:7], off
	;; [unrolled: 1-line block ×5, first 2 shown]
.LBB0_10:
	s_endpgm
	.section	.rodata,"a",@progbits
	.p2align	6, 0x0
	.amdhsa_kernel bluestein_single_fwd_len1250_dim1_dp_op_CI_CI
		.amdhsa_group_segment_fixed_size 20000
		.amdhsa_private_segment_fixed_size 0
		.amdhsa_kernarg_size 104
		.amdhsa_user_sgpr_count 6
		.amdhsa_user_sgpr_private_segment_buffer 1
		.amdhsa_user_sgpr_dispatch_ptr 0
		.amdhsa_user_sgpr_queue_ptr 0
		.amdhsa_user_sgpr_kernarg_segment_ptr 1
		.amdhsa_user_sgpr_dispatch_id 0
		.amdhsa_user_sgpr_flat_scratch_init 0
		.amdhsa_user_sgpr_private_segment_size 0
		.amdhsa_wavefront_size32 1
		.amdhsa_uses_dynamic_stack 0
		.amdhsa_system_sgpr_private_segment_wavefront_offset 0
		.amdhsa_system_sgpr_workgroup_id_x 1
		.amdhsa_system_sgpr_workgroup_id_y 0
		.amdhsa_system_sgpr_workgroup_id_z 0
		.amdhsa_system_sgpr_workgroup_info 0
		.amdhsa_system_vgpr_workitem_id 0
		.amdhsa_next_free_vgpr 178
		.amdhsa_next_free_sgpr 23
		.amdhsa_reserve_vcc 1
		.amdhsa_reserve_flat_scratch 0
		.amdhsa_float_round_mode_32 0
		.amdhsa_float_round_mode_16_64 0
		.amdhsa_float_denorm_mode_32 3
		.amdhsa_float_denorm_mode_16_64 3
		.amdhsa_dx10_clamp 1
		.amdhsa_ieee_mode 1
		.amdhsa_fp16_overflow 0
		.amdhsa_workgroup_processor_mode 1
		.amdhsa_memory_ordered 1
		.amdhsa_forward_progress 0
		.amdhsa_shared_vgpr_count 0
		.amdhsa_exception_fp_ieee_invalid_op 0
		.amdhsa_exception_fp_denorm_src 0
		.amdhsa_exception_fp_ieee_div_zero 0
		.amdhsa_exception_fp_ieee_overflow 0
		.amdhsa_exception_fp_ieee_underflow 0
		.amdhsa_exception_fp_ieee_inexact 0
		.amdhsa_exception_int_div_zero 0
	.end_amdhsa_kernel
	.text
.Lfunc_end0:
	.size	bluestein_single_fwd_len1250_dim1_dp_op_CI_CI, .Lfunc_end0-bluestein_single_fwd_len1250_dim1_dp_op_CI_CI
                                        ; -- End function
	.section	.AMDGPU.csdata,"",@progbits
; Kernel info:
; codeLenInByte = 9660
; NumSgprs: 25
; NumVgprs: 178
; ScratchSize: 0
; MemoryBound: 0
; FloatMode: 240
; IeeeMode: 1
; LDSByteSize: 20000 bytes/workgroup (compile time only)
; SGPRBlocks: 3
; VGPRBlocks: 22
; NumSGPRsForWavesPerEU: 25
; NumVGPRsForWavesPerEU: 178
; Occupancy: 5
; WaveLimiterHint : 1
; COMPUTE_PGM_RSRC2:SCRATCH_EN: 0
; COMPUTE_PGM_RSRC2:USER_SGPR: 6
; COMPUTE_PGM_RSRC2:TRAP_HANDLER: 0
; COMPUTE_PGM_RSRC2:TGID_X_EN: 1
; COMPUTE_PGM_RSRC2:TGID_Y_EN: 0
; COMPUTE_PGM_RSRC2:TGID_Z_EN: 0
; COMPUTE_PGM_RSRC2:TIDIG_COMP_CNT: 0
	.text
	.p2alignl 6, 3214868480
	.fill 48, 4, 3214868480
	.type	__hip_cuid_6336d0aa43a32ddd,@object ; @__hip_cuid_6336d0aa43a32ddd
	.section	.bss,"aw",@nobits
	.globl	__hip_cuid_6336d0aa43a32ddd
__hip_cuid_6336d0aa43a32ddd:
	.byte	0                               ; 0x0
	.size	__hip_cuid_6336d0aa43a32ddd, 1

	.ident	"AMD clang version 19.0.0git (https://github.com/RadeonOpenCompute/llvm-project roc-6.4.0 25133 c7fe45cf4b819c5991fe208aaa96edf142730f1d)"
	.section	".note.GNU-stack","",@progbits
	.addrsig
	.addrsig_sym __hip_cuid_6336d0aa43a32ddd
	.amdgpu_metadata
---
amdhsa.kernels:
  - .args:
      - .actual_access:  read_only
        .address_space:  global
        .offset:         0
        .size:           8
        .value_kind:     global_buffer
      - .actual_access:  read_only
        .address_space:  global
        .offset:         8
        .size:           8
        .value_kind:     global_buffer
      - .actual_access:  read_only
        .address_space:  global
        .offset:         16
        .size:           8
        .value_kind:     global_buffer
      - .actual_access:  read_only
        .address_space:  global
        .offset:         24
        .size:           8
        .value_kind:     global_buffer
      - .actual_access:  read_only
        .address_space:  global
        .offset:         32
        .size:           8
        .value_kind:     global_buffer
      - .offset:         40
        .size:           8
        .value_kind:     by_value
      - .address_space:  global
        .offset:         48
        .size:           8
        .value_kind:     global_buffer
      - .address_space:  global
        .offset:         56
        .size:           8
        .value_kind:     global_buffer
      - .address_space:  global
        .offset:         64
        .size:           8
        .value_kind:     global_buffer
      - .address_space:  global
        .offset:         72
        .size:           8
        .value_kind:     global_buffer
      - .offset:         80
        .size:           4
        .value_kind:     by_value
      - .address_space:  global
        .offset:         88
        .size:           8
        .value_kind:     global_buffer
      - .address_space:  global
        .offset:         96
        .size:           8
        .value_kind:     global_buffer
    .group_segment_fixed_size: 20000
    .kernarg_segment_align: 8
    .kernarg_segment_size: 104
    .language:       OpenCL C
    .language_version:
      - 2
      - 0
    .max_flat_workgroup_size: 250
    .name:           bluestein_single_fwd_len1250_dim1_dp_op_CI_CI
    .private_segment_fixed_size: 0
    .sgpr_count:     25
    .sgpr_spill_count: 0
    .symbol:         bluestein_single_fwd_len1250_dim1_dp_op_CI_CI.kd
    .uniform_work_group_size: 1
    .uses_dynamic_stack: false
    .vgpr_count:     178
    .vgpr_spill_count: 0
    .wavefront_size: 32
    .workgroup_processor_mode: 1
amdhsa.target:   amdgcn-amd-amdhsa--gfx1030
amdhsa.version:
  - 1
  - 2
...

	.end_amdgpu_metadata
